;; amdgpu-corpus repo=ROCm/rocFFT kind=compiled arch=gfx906 opt=O3
	.text
	.amdgcn_target "amdgcn-amd-amdhsa--gfx906"
	.amdhsa_code_object_version 6
	.protected	fft_rtc_back_len1274_factors_2_13_7_7_wgs_182_tpt_182_halfLds_half_ip_CI_unitstride_sbrr_R2C_dirReg ; -- Begin function fft_rtc_back_len1274_factors_2_13_7_7_wgs_182_tpt_182_halfLds_half_ip_CI_unitstride_sbrr_R2C_dirReg
	.globl	fft_rtc_back_len1274_factors_2_13_7_7_wgs_182_tpt_182_halfLds_half_ip_CI_unitstride_sbrr_R2C_dirReg
	.p2align	8
	.type	fft_rtc_back_len1274_factors_2_13_7_7_wgs_182_tpt_182_halfLds_half_ip_CI_unitstride_sbrr_R2C_dirReg,@function
fft_rtc_back_len1274_factors_2_13_7_7_wgs_182_tpt_182_halfLds_half_ip_CI_unitstride_sbrr_R2C_dirReg: ; @fft_rtc_back_len1274_factors_2_13_7_7_wgs_182_tpt_182_halfLds_half_ip_CI_unitstride_sbrr_R2C_dirReg
; %bb.0:
	s_load_dwordx2 s[12:13], s[4:5], 0x50
	s_load_dwordx4 s[8:11], s[4:5], 0x0
	s_load_dwordx2 s[2:3], s[4:5], 0x18
	v_mul_u32_u24_e32 v1, 0x169, v0
	v_add_u32_sdwa v5, s6, v1 dst_sel:DWORD dst_unused:UNUSED_PAD src0_sel:DWORD src1_sel:WORD_1
	v_mov_b32_e32 v3, 0
	s_waitcnt lgkmcnt(0)
	v_cmp_lt_u64_e64 s[0:1], s[10:11], 2
	v_mov_b32_e32 v1, 0
	v_mov_b32_e32 v6, v3
	s_and_b64 vcc, exec, s[0:1]
	v_mov_b32_e32 v2, 0
	s_cbranch_vccnz .LBB0_8
; %bb.1:
	s_load_dwordx2 s[0:1], s[4:5], 0x10
	s_add_u32 s6, s2, 8
	s_addc_u32 s7, s3, 0
	v_mov_b32_e32 v1, 0
	v_mov_b32_e32 v2, 0
	s_waitcnt lgkmcnt(0)
	s_add_u32 s14, s0, 8
	s_addc_u32 s15, s1, 0
	s_mov_b64 s[16:17], 1
.LBB0_2:                                ; =>This Inner Loop Header: Depth=1
	s_load_dwordx2 s[18:19], s[14:15], 0x0
                                        ; implicit-def: $vgpr7_vgpr8
	s_waitcnt lgkmcnt(0)
	v_or_b32_e32 v4, s19, v6
	v_cmp_ne_u64_e32 vcc, 0, v[3:4]
	s_and_saveexec_b64 s[0:1], vcc
	s_xor_b64 s[20:21], exec, s[0:1]
	s_cbranch_execz .LBB0_4
; %bb.3:                                ;   in Loop: Header=BB0_2 Depth=1
	v_cvt_f32_u32_e32 v4, s18
	v_cvt_f32_u32_e32 v7, s19
	s_sub_u32 s0, 0, s18
	s_subb_u32 s1, 0, s19
	v_mac_f32_e32 v4, 0x4f800000, v7
	v_rcp_f32_e32 v4, v4
	v_mul_f32_e32 v4, 0x5f7ffffc, v4
	v_mul_f32_e32 v7, 0x2f800000, v4
	v_trunc_f32_e32 v7, v7
	v_mac_f32_e32 v4, 0xcf800000, v7
	v_cvt_u32_f32_e32 v7, v7
	v_cvt_u32_f32_e32 v4, v4
	v_mul_lo_u32 v8, s0, v7
	v_mul_hi_u32 v9, s0, v4
	v_mul_lo_u32 v11, s1, v4
	v_mul_lo_u32 v10, s0, v4
	v_add_u32_e32 v8, v9, v8
	v_add_u32_e32 v8, v8, v11
	v_mul_hi_u32 v9, v4, v10
	v_mul_lo_u32 v11, v4, v8
	v_mul_hi_u32 v13, v4, v8
	v_mul_hi_u32 v12, v7, v10
	v_mul_lo_u32 v10, v7, v10
	v_mul_hi_u32 v14, v7, v8
	v_add_co_u32_e32 v9, vcc, v9, v11
	v_addc_co_u32_e32 v11, vcc, 0, v13, vcc
	v_mul_lo_u32 v8, v7, v8
	v_add_co_u32_e32 v9, vcc, v9, v10
	v_addc_co_u32_e32 v9, vcc, v11, v12, vcc
	v_addc_co_u32_e32 v10, vcc, 0, v14, vcc
	v_add_co_u32_e32 v8, vcc, v9, v8
	v_addc_co_u32_e32 v9, vcc, 0, v10, vcc
	v_add_co_u32_e32 v4, vcc, v4, v8
	v_addc_co_u32_e32 v7, vcc, v7, v9, vcc
	v_mul_lo_u32 v8, s0, v7
	v_mul_hi_u32 v9, s0, v4
	v_mul_lo_u32 v10, s1, v4
	v_mul_lo_u32 v11, s0, v4
	v_add_u32_e32 v8, v9, v8
	v_add_u32_e32 v8, v8, v10
	v_mul_lo_u32 v12, v4, v8
	v_mul_hi_u32 v13, v4, v11
	v_mul_hi_u32 v14, v4, v8
	;; [unrolled: 1-line block ×3, first 2 shown]
	v_mul_lo_u32 v11, v7, v11
	v_mul_hi_u32 v9, v7, v8
	v_add_co_u32_e32 v12, vcc, v13, v12
	v_addc_co_u32_e32 v13, vcc, 0, v14, vcc
	v_mul_lo_u32 v8, v7, v8
	v_add_co_u32_e32 v11, vcc, v12, v11
	v_addc_co_u32_e32 v10, vcc, v13, v10, vcc
	v_addc_co_u32_e32 v9, vcc, 0, v9, vcc
	v_add_co_u32_e32 v8, vcc, v10, v8
	v_addc_co_u32_e32 v9, vcc, 0, v9, vcc
	v_add_co_u32_e32 v4, vcc, v4, v8
	v_addc_co_u32_e32 v9, vcc, v7, v9, vcc
	v_mad_u64_u32 v[7:8], s[0:1], v5, v9, 0
	v_mul_hi_u32 v10, v5, v4
	v_add_co_u32_e32 v11, vcc, v10, v7
	v_addc_co_u32_e32 v12, vcc, 0, v8, vcc
	v_mad_u64_u32 v[7:8], s[0:1], v6, v4, 0
	v_mad_u64_u32 v[9:10], s[0:1], v6, v9, 0
	v_add_co_u32_e32 v4, vcc, v11, v7
	v_addc_co_u32_e32 v4, vcc, v12, v8, vcc
	v_addc_co_u32_e32 v7, vcc, 0, v10, vcc
	v_add_co_u32_e32 v4, vcc, v4, v9
	v_addc_co_u32_e32 v9, vcc, 0, v7, vcc
	v_mul_lo_u32 v10, s19, v4
	v_mul_lo_u32 v11, s18, v9
	v_mad_u64_u32 v[7:8], s[0:1], s18, v4, 0
	v_add3_u32 v8, v8, v11, v10
	v_sub_u32_e32 v10, v6, v8
	v_mov_b32_e32 v11, s19
	v_sub_co_u32_e32 v7, vcc, v5, v7
	v_subb_co_u32_e64 v10, s[0:1], v10, v11, vcc
	v_subrev_co_u32_e64 v11, s[0:1], s18, v7
	v_subbrev_co_u32_e64 v10, s[0:1], 0, v10, s[0:1]
	v_cmp_le_u32_e64 s[0:1], s19, v10
	v_cndmask_b32_e64 v12, 0, -1, s[0:1]
	v_cmp_le_u32_e64 s[0:1], s18, v11
	v_cndmask_b32_e64 v11, 0, -1, s[0:1]
	v_cmp_eq_u32_e64 s[0:1], s19, v10
	v_cndmask_b32_e64 v10, v12, v11, s[0:1]
	v_add_co_u32_e64 v11, s[0:1], 2, v4
	v_addc_co_u32_e64 v12, s[0:1], 0, v9, s[0:1]
	v_add_co_u32_e64 v13, s[0:1], 1, v4
	v_addc_co_u32_e64 v14, s[0:1], 0, v9, s[0:1]
	v_subb_co_u32_e32 v8, vcc, v6, v8, vcc
	v_cmp_ne_u32_e64 s[0:1], 0, v10
	v_cmp_le_u32_e32 vcc, s19, v8
	v_cndmask_b32_e64 v10, v14, v12, s[0:1]
	v_cndmask_b32_e64 v12, 0, -1, vcc
	v_cmp_le_u32_e32 vcc, s18, v7
	v_cndmask_b32_e64 v7, 0, -1, vcc
	v_cmp_eq_u32_e32 vcc, s19, v8
	v_cndmask_b32_e32 v7, v12, v7, vcc
	v_cmp_ne_u32_e32 vcc, 0, v7
	v_cndmask_b32_e64 v7, v13, v11, s[0:1]
	v_cndmask_b32_e32 v8, v9, v10, vcc
	v_cndmask_b32_e32 v7, v4, v7, vcc
.LBB0_4:                                ;   in Loop: Header=BB0_2 Depth=1
	s_andn2_saveexec_b64 s[0:1], s[20:21]
	s_cbranch_execz .LBB0_6
; %bb.5:                                ;   in Loop: Header=BB0_2 Depth=1
	v_cvt_f32_u32_e32 v4, s18
	s_sub_i32 s20, 0, s18
	v_rcp_iflag_f32_e32 v4, v4
	v_mul_f32_e32 v4, 0x4f7ffffe, v4
	v_cvt_u32_f32_e32 v4, v4
	v_mul_lo_u32 v7, s20, v4
	v_mul_hi_u32 v7, v4, v7
	v_add_u32_e32 v4, v4, v7
	v_mul_hi_u32 v4, v5, v4
	v_mul_lo_u32 v7, v4, s18
	v_add_u32_e32 v8, 1, v4
	v_sub_u32_e32 v7, v5, v7
	v_subrev_u32_e32 v9, s18, v7
	v_cmp_le_u32_e32 vcc, s18, v7
	v_cndmask_b32_e32 v7, v7, v9, vcc
	v_cndmask_b32_e32 v4, v4, v8, vcc
	v_add_u32_e32 v8, 1, v4
	v_cmp_le_u32_e32 vcc, s18, v7
	v_cndmask_b32_e32 v7, v4, v8, vcc
	v_mov_b32_e32 v8, v3
.LBB0_6:                                ;   in Loop: Header=BB0_2 Depth=1
	s_or_b64 exec, exec, s[0:1]
	v_mul_lo_u32 v4, v8, s18
	v_mul_lo_u32 v11, v7, s19
	v_mad_u64_u32 v[9:10], s[0:1], v7, s18, 0
	s_load_dwordx2 s[0:1], s[6:7], 0x0
	s_add_u32 s16, s16, 1
	v_add3_u32 v4, v10, v11, v4
	v_sub_co_u32_e32 v5, vcc, v5, v9
	v_subb_co_u32_e32 v4, vcc, v6, v4, vcc
	s_waitcnt lgkmcnt(0)
	v_mul_lo_u32 v4, s0, v4
	v_mul_lo_u32 v6, s1, v5
	v_mad_u64_u32 v[1:2], s[0:1], s0, v5, v[1:2]
	s_addc_u32 s17, s17, 0
	s_add_u32 s6, s6, 8
	v_add3_u32 v2, v6, v2, v4
	v_mov_b32_e32 v4, s10
	v_mov_b32_e32 v5, s11
	s_addc_u32 s7, s7, 0
	v_cmp_ge_u64_e32 vcc, s[16:17], v[4:5]
	s_add_u32 s14, s14, 8
	s_addc_u32 s15, s15, 0
	s_cbranch_vccnz .LBB0_9
; %bb.7:                                ;   in Loop: Header=BB0_2 Depth=1
	v_mov_b32_e32 v5, v7
	v_mov_b32_e32 v6, v8
	s_branch .LBB0_2
.LBB0_8:
	v_mov_b32_e32 v8, v6
	v_mov_b32_e32 v7, v5
.LBB0_9:
	s_lshl_b64 s[0:1], s[10:11], 3
	s_add_u32 s0, s2, s0
	s_addc_u32 s1, s3, s1
	s_load_dwordx2 s[2:3], s[0:1], 0x0
	s_load_dwordx2 s[6:7], s[4:5], 0x20
                                        ; implicit-def: $vgpr11
                                        ; implicit-def: $vgpr10
	s_waitcnt lgkmcnt(0)
	v_mad_u64_u32 v[1:2], s[0:1], s2, v7, v[1:2]
	s_mov_b32 s0, 0x1681682
	v_mul_lo_u32 v3, s2, v8
	v_mul_lo_u32 v4, s3, v7
	v_mul_hi_u32 v5, v0, s0
	v_cmp_gt_u64_e64 s[0:1], s[6:7], v[7:8]
	v_cmp_le_u64_e32 vcc, s[6:7], v[7:8]
	v_add3_u32 v2, v4, v2, v3
	v_mul_u32_u24_e32 v3, 0xb6, v5
	v_sub_u32_e32 v4, v0, v3
                                        ; implicit-def: $vgpr8
	s_and_saveexec_b64 s[2:3], vcc
	s_xor_b64 s[2:3], exec, s[2:3]
; %bb.10:
	v_add_u32_e32 v8, 0xb6, v4
	v_add_u32_e32 v11, 0x16c, v4
	;; [unrolled: 1-line block ×3, first 2 shown]
; %bb.11:
	s_or_saveexec_b64 s[2:3], s[2:3]
	v_lshlrev_b64 v[6:7], 2, v[1:2]
	s_xor_b64 exec, exec, s[2:3]
	s_cbranch_execz .LBB0_13
; %bb.12:
	v_mov_b32_e32 v5, 0
	v_mov_b32_e32 v0, s13
	v_add_co_u32_e32 v2, vcc, s12, v6
	v_addc_co_u32_e32 v3, vcc, v0, v7, vcc
	v_lshlrev_b64 v[0:1], 2, v[4:5]
	v_add_u32_e32 v8, 0xb6, v4
	v_add_co_u32_e32 v0, vcc, v2, v0
	v_addc_co_u32_e32 v1, vcc, v3, v1, vcc
	v_add_co_u32_e32 v2, vcc, 0x1000, v0
	v_addc_co_u32_e32 v3, vcc, 0, v1, vcc
	global_load_dword v5, v[0:1], off
	global_load_dword v9, v[0:1], off offset:728
	global_load_dword v12, v[0:1], off offset:1456
	;; [unrolled: 1-line block ×6, first 2 shown]
	v_lshl_add_u32 v0, v4, 2, 0
	v_add_u32_e32 v1, 0x500, v0
	v_add_u32_e32 v11, 0x16c, v4
	;; [unrolled: 1-line block ×3, first 2 shown]
	s_waitcnt vmcnt(5)
	ds_write2_b32 v0, v5, v9 offset1:182
	s_waitcnt vmcnt(3)
	ds_write2_b32 v1, v12, v13 offset0:44 offset1:226
	v_add_u32_e32 v1, 0xb00, v0
	s_waitcnt vmcnt(1)
	ds_write2_b32 v1, v14, v15 offset0:24 offset1:206
	s_waitcnt vmcnt(0)
	ds_write_b32 v0, v16 offset:4368
.LBB0_13:
	s_or_b64 exec, exec, s[2:3]
	v_lshlrev_b32_e32 v5, 2, v4
	v_add_u32_e32 v24, 0, v5
	v_add_u32_e32 v0, 0x500, v24
	s_waitcnt lgkmcnt(0)
	s_barrier
	ds_read2_b32 v[0:1], v0 offset0:44 offset1:226
	v_add_u32_e32 v2, 0xf00, v24
	ds_read2_b32 v[2:3], v2 offset0:41 offset1:223
	ds_read2_b32 v[12:13], v24 offset1:182
	s_movk_i32 s2, 0x5b
	v_cmp_gt_u32_e32 vcc, s2, v4
	s_waitcnt lgkmcnt(1)
	v_pk_add_f16 v19, v1, v3 neg_lo:[0,1] neg_hi:[0,1]
	v_add_u32_e32 v3, 0x900, v24
	ds_read2_b32 v[20:21], v3 offset0:61 offset1:243
	v_pk_add_f16 v15, v0, v2 neg_lo:[0,1] neg_hi:[0,1]
	v_pk_fma_f16 v14, v0, 2.0, v15 op_sel_hi:[1,0,1] neg_lo:[0,0,1] neg_hi:[0,0,1]
	s_waitcnt lgkmcnt(1)
	v_lshrrev_b32_e32 v0, 16, v12
	v_pk_fma_f16 v18, v1, 2.0, v19 op_sel_hi:[1,0,1] neg_lo:[0,0,1] neg_hi:[0,0,1]
	s_waitcnt lgkmcnt(0)
	v_pk_add_f16 v17, v13, v21 neg_lo:[0,1] neg_hi:[0,1]
	v_pk_fma_f16 v16, v13, 2.0, v17 op_sel_hi:[1,0,1] neg_lo:[0,0,1] neg_hi:[0,0,1]
	v_pk_add_f16 v13, v12, v20 neg_lo:[0,1] neg_hi:[0,1]
	v_lshrrev_b32_e32 v25, 16, v13
	v_fma_f16 v0, v0, 2.0, -v25
	v_fma_f16 v2, v12, 2.0, -v13
	v_lshlrev_b32_e32 v0, 16, v0
	v_add_u32_e32 v1, v24, v5
	v_or_b32_sdwa v12, v0, v2 dst_sel:DWORD dst_unused:UNUSED_PAD src0_sel:DWORD src1_sel:WORD_0
	v_lshl_add_u32 v0, v8, 3, 0
	v_lshl_add_u32 v2, v11, 3, 0
	s_barrier
	ds_write2_b32 v1, v12, v13 offset1:1
	ds_write2_b32 v0, v16, v17 offset1:1
	;; [unrolled: 1-line block ×3, first 2 shown]
	s_and_saveexec_b64 s[2:3], vcc
	s_cbranch_execz .LBB0_15
; %bb.14:
	v_lshl_add_u32 v0, v10, 3, 0
	ds_write2_b32 v0, v18, v19 offset1:1
.LBB0_15:
	s_or_b64 exec, exec, s[2:3]
	s_movk_i32 s2, 0x62
	v_cmp_gt_u32_e64 s[2:3], s2, v4
	v_lshrrev_b32_e32 v31, 16, v18
	v_lshrrev_b32_e32 v37, 16, v19
	;; [unrolled: 1-line block ×6, first 2 shown]
	s_waitcnt lgkmcnt(0)
	s_barrier
	s_waitcnt lgkmcnt(0)
                                        ; implicit-def: $vgpr36
                                        ; implicit-def: $vgpr30
                                        ; implicit-def: $vgpr32
                                        ; implicit-def: $vgpr33
                                        ; implicit-def: $vgpr34
                                        ; implicit-def: $vgpr29
                                        ; implicit-def: $vgpr23
                                        ; implicit-def: $vgpr21
	s_and_saveexec_b64 s[4:5], s[2:3]
	s_cbranch_execz .LBB0_17
; %bb.16:
	v_add_u32_e32 v0, 0x200, v24
	v_add_u32_e32 v1, 0xc00, v24
	ds_read2_b32 v[16:17], v0 offset0:68 offset1:166
	v_add_u32_e32 v0, 0x400, v24
	ds_read2_b32 v[20:21], v1 offset0:16 offset1:114
	v_add_u32_e32 v1, 0xe00, v24
	ds_read2_b32 v[12:13], v24 offset1:98
	ds_read2_b32 v[14:15], v0 offset0:136 offset1:234
	v_add_u32_e32 v0, 0x800, v24
	ds_read2_b32 v[22:23], v1 offset0:84 offset1:182
	ds_read2_b32 v[18:19], v0 offset0:76 offset1:174
	ds_read_b32 v30, v24 offset:4704
	s_waitcnt lgkmcnt(5)
	v_lshrrev_b32_e32 v29, 16, v20
	v_lshrrev_b32_e32 v34, 16, v21
	s_waitcnt lgkmcnt(2)
	v_lshrrev_b32_e32 v33, 16, v22
	v_lshrrev_b32_e32 v32, 16, v23
	;; [unrolled: 3-line block ×3, first 2 shown]
	v_lshrrev_b32_e32 v27, 16, v16
	v_lshrrev_b32_e32 v28, 16, v17
	;; [unrolled: 1-line block ×6, first 2 shown]
.LBB0_17:
	s_or_b64 exec, exec, s[4:5]
	s_barrier
	s_and_saveexec_b64 s[4:5], s[2:3]
	s_cbranch_execz .LBB0_19
; %bb.18:
	v_and_b32_e32 v9, 1, v4
	v_mul_u32_u24_e32 v0, 12, v9
	v_lshlrev_b32_e32 v46, 2, v0
	global_load_dwordx4 v[0:3], v46, s[8:9] offset:32
	global_load_dwordx4 v[38:41], v46, s[8:9] offset:16
	global_load_dwordx4 v[42:45], v46, s[8:9]
	s_mov_b32 s2, 0xbbc4
	s_movk_i32 s7, 0x3770
	s_mov_b32 s3, 0xb94e
	s_movk_i32 s11, 0x3a95
	;; [unrolled: 2-line block ×3, first 2 shown]
	s_movk_i32 s15, 0x394e
	s_mov_b32 s14, 0xbbf1
	s_mov_b32 s18, 0xb770
	s_movk_i32 s17, 0x3b7b
	s_mov_b32 s16, 0xba95
	s_movk_i32 s21, 0x3b15
	;; [unrolled: 2-line block ×5, first 2 shown]
	s_waitcnt vmcnt(2)
	v_mul_f16_sdwa v50, v36, v3 dst_sel:DWORD dst_unused:UNUSED_PAD src0_sel:DWORD src1_sel:WORD_1
	v_mul_f16_sdwa v51, v30, v3 dst_sel:DWORD dst_unused:UNUSED_PAD src0_sel:DWORD src1_sel:WORD_1
	s_waitcnt vmcnt(0)
	v_mul_f16_sdwa v68, v13, v42 dst_sel:DWORD dst_unused:UNUSED_PAD src0_sel:DWORD src1_sel:WORD_1
	v_mul_f16_sdwa v69, v25, v42 dst_sel:DWORD dst_unused:UNUSED_PAD src0_sel:DWORD src1_sel:WORD_1
	;; [unrolled: 1-line block ×8, first 2 shown]
	v_fma_f16 v30, v30, v3, v50
	v_fma_f16 v3, v36, v3, -v51
	v_fma_f16 v25, v25, v42, -v68
	v_fma_f16 v13, v13, v42, v69
	v_mul_f16_sdwa v53, v34, v0 dst_sel:DWORD dst_unused:UNUSED_PAD src0_sel:DWORD src1_sel:WORD_1
	v_mul_f16_sdwa v54, v29, v41 dst_sel:DWORD dst_unused:UNUSED_PAD src0_sel:DWORD src1_sel:WORD_1
	;; [unrolled: 1-line block ×8, first 2 shown]
	v_fma_f16 v23, v23, v2, v46
	v_fma_f16 v22, v22, v1, v47
	v_fma_f16 v2, v32, v2, -v48
	v_fma_f16 v1, v33, v1, -v49
	;; [unrolled: 1-line block ×4, first 2 shown]
	v_sub_f16_e32 v34, v13, v30
	v_add_f16_e32 v35, v25, v3
	v_mul_f16_sdwa v62, v27, v43 dst_sel:DWORD dst_unused:UNUSED_PAD src0_sel:DWORD src1_sel:WORD_1
	v_mul_f16_sdwa v63, v28, v44 dst_sel:DWORD dst_unused:UNUSED_PAD src0_sel:DWORD src1_sel:WORD_1
	;; [unrolled: 1-line block ×6, first 2 shown]
	v_fma_f16 v0, v21, v0, v53
	v_fma_f16 v20, v20, v41, v54
	;; [unrolled: 1-line block ×4, first 2 shown]
	v_fma_f16 v21, v29, v41, -v55
	v_fma_f16 v29, v37, v40, -v58
	;; [unrolled: 1-line block ×3, first 2 shown]
	v_fma_f16 v15, v15, v38, v61
	v_mul_f16_e32 v36, 0xb3a8, v34
	v_mul_f16_e32 v37, 0xb9fd, v35
	;; [unrolled: 1-line block ×6, first 2 shown]
	v_sub_f16_e32 v47, v25, v3
	v_fma_f16 v16, v16, v43, v62
	v_fma_f16 v17, v17, v44, v63
	;; [unrolled: 1-line block ×3, first 2 shown]
	v_fma_f16 v27, v27, v43, -v64
	v_fma_f16 v28, v28, v44, -v65
	;; [unrolled: 1-line block ×3, first 2 shown]
	v_fma_f16 v42, v35, s2, v36
	v_fma_f16 v35, v35, s2, -v36
	v_fma_f16 v36, v34, s15, v37
	v_fma_f16 v37, v34, s3, v37
	;; [unrolled: 1-line block ×10, first 2 shown]
	v_add_f16_e32 v41, v13, v30
	v_mul_f16_e32 v48, 0xb3a8, v47
	v_mul_f16_e32 v50, 0xb94e, v47
	;; [unrolled: 1-line block ×6, first 2 shown]
	v_fma_f16 v49, v41, s2, -v48
	v_fma_f16 v48, v41, s2, v48
	v_fma_f16 v54, v41, s19, v50
	v_fma_f16 v50, v41, s19, -v50
	v_fma_f16 v55, v41, s22, v51
	v_fma_f16 v51, v41, s22, -v51
	;; [unrolled: 2-line block ×5, first 2 shown]
	v_add_f16_sdwa v42, v42, v12 dst_sel:DWORD dst_unused:UNUSED_PAD src0_sel:DWORD src1_sel:WORD_1
	v_add_f16_e32 v47, v49, v12
	v_add_f16_sdwa v35, v35, v12 dst_sel:DWORD dst_unused:UNUSED_PAD src0_sel:DWORD src1_sel:WORD_1
	v_add_f16_e32 v48, v48, v12
	v_add_f16_sdwa v36, v36, v12 dst_sel:DWORD dst_unused:UNUSED_PAD src0_sel:DWORD src1_sel:WORD_1
	v_add_f16_e32 v49, v54, v12
	v_add_f16_sdwa v43, v43, v12 dst_sel:DWORD dst_unused:UNUSED_PAD src0_sel:DWORD src1_sel:WORD_1
	v_add_f16_e32 v54, v55, v12
	v_add_f16_sdwa v44, v44, v12 dst_sel:DWORD dst_unused:UNUSED_PAD src0_sel:DWORD src1_sel:WORD_1
	v_add_f16_e32 v55, v56, v12
	v_add_f16_sdwa v45, v45, v12 dst_sel:DWORD dst_unused:UNUSED_PAD src0_sel:DWORD src1_sel:WORD_1
	v_add_f16_e32 v56, v57, v12
	v_add_f16_sdwa v46, v46, v12 dst_sel:DWORD dst_unused:UNUSED_PAD src0_sel:DWORD src1_sel:WORD_1
	v_add_f16_e32 v57, v58, v12
	v_add_f16_sdwa v37, v37, v12 dst_sel:DWORD dst_unused:UNUSED_PAD src0_sel:DWORD src1_sel:WORD_1
	v_add_f16_e32 v50, v50, v12
	v_add_f16_sdwa v38, v38, v12 dst_sel:DWORD dst_unused:UNUSED_PAD src0_sel:DWORD src1_sel:WORD_1
	v_add_f16_e32 v51, v51, v12
	v_add_f16_sdwa v39, v39, v12 dst_sel:DWORD dst_unused:UNUSED_PAD src0_sel:DWORD src1_sel:WORD_1
	v_add_f16_e32 v52, v52, v12
	v_add_f16_sdwa v40, v40, v12 dst_sel:DWORD dst_unused:UNUSED_PAD src0_sel:DWORD src1_sel:WORD_1
	v_add_f16_e32 v53, v53, v12
	v_add_f16_sdwa v34, v34, v12 dst_sel:DWORD dst_unused:UNUSED_PAD src0_sel:DWORD src1_sel:WORD_1
	v_add_f16_e32 v41, v41, v12
	v_add_f16_sdwa v25, v25, v12 dst_sel:DWORD dst_unused:UNUSED_PAD src0_sel:DWORD src1_sel:WORD_1
	v_add_f16_e32 v12, v13, v12
	v_sub_f16_e32 v13, v16, v23
	v_mul_f16_e32 v58, 0x3770, v13
	v_add_f16_e32 v59, v27, v2
	v_fma_f16 v60, v59, s21, v58
	v_add_f16_e32 v42, v60, v42
	v_sub_f16_e32 v60, v17, v22
	v_mul_f16_e32 v61, 0xb94e, v60
	v_add_f16_e32 v62, v28, v1
	v_fma_f16 v63, v62, s19, v61
	v_add_f16_e32 v42, v63, v42
	;; [unrolled: 5-line block ×4, first 2 shown]
	v_sub_f16_e32 v69, v18, v19
	v_mul_f16_e32 v70, 0x3bf1, v69
	v_add_f16_e32 v71, v31, v29
	v_fma_f16 v72, v71, s23, v70
	v_sub_f16_e32 v73, v27, v2
	v_add_f16_e32 v42, v72, v42
	v_add_f16_e32 v72, v16, v23
	v_mul_f16_e32 v74, 0x3770, v73
	v_fma_f16 v58, v59, s21, -v58
	v_fma_f16 v75, v72, s21, -v74
	v_sub_f16_e32 v76, v28, v1
	v_add_f16_e32 v35, v58, v35
	v_fma_f16 v58, v62, s19, -v61
	v_add_f16_e32 v47, v75, v47
	v_add_f16_e32 v75, v17, v22
	v_mul_f16_e32 v77, 0xb94e, v76
	v_add_f16_e32 v35, v58, v35
	v_fma_f16 v58, v65, s20, -v64
	v_fma_f16 v78, v75, s19, -v77
	v_sub_f16_e32 v79, v26, v32
	v_add_f16_e32 v35, v58, v35
	v_fma_f16 v58, v68, s22, -v67
	v_add_f16_e32 v47, v78, v47
	v_add_f16_e32 v78, v14, v0
	v_mul_f16_e32 v80, 0x3a95, v79
	v_add_f16_e32 v35, v58, v35
	v_fma_f16 v58, v71, s23, -v70
	v_fma_f16 v81, v78, s20, -v80
	v_sub_f16_e32 v82, v33, v21
	v_add_f16_e32 v35, v58, v35
	v_fma_f16 v58, v72, s21, v74
	v_add_f16_e32 v47, v81, v47
	v_add_f16_e32 v81, v15, v20
	v_mul_f16_e32 v83, 0xbb7b, v82
	v_add_f16_e32 v48, v58, v48
	v_fma_f16 v58, v75, s19, v77
	v_fma_f16 v84, v81, s22, -v83
	v_sub_f16_e32 v85, v31, v29
	v_add_f16_e32 v48, v58, v48
	v_fma_f16 v58, v78, s20, v80
	v_add_f16_e32 v47, v84, v47
	v_add_f16_e32 v84, v18, v19
	v_mul_f16_e32 v86, 0x3bf1, v85
	v_add_f16_e32 v48, v58, v48
	v_fma_f16 v58, v81, s22, v83
	v_add_f16_e32 v48, v58, v48
	v_fma_f16 v58, v84, s23, v86
	v_add_f16_e32 v48, v58, v48
	v_mul_f16_e32 v58, 0x2fb7, v59
	v_fma_f16 v61, v13, s14, v58
	v_add_f16_e32 v36, v61, v36
	v_mul_f16_e32 v61, 0x388b, v62
	;; [unrolled: 3-line block ×9, first 2 shown]
	v_fma_f16 v87, v84, s23, -v86
	v_fma_f16 v86, v81, s21, v83
	v_add_f16_e32 v49, v86, v49
	v_mul_f16_e32 v86, 0xbb7b, v85
	v_add_f16_e32 v47, v87, v47
	v_fma_f16 v87, v84, s22, v86
	v_add_f16_e32 v49, v87, v49
	v_mul_f16_e32 v87, 0xb9fd, v59
	v_fma_f16 v88, v13, s3, v87
	v_add_f16_e32 v43, v88, v43
	v_mul_f16_e32 v88, 0x3b15, v62
	v_fma_f16 v89, v60, s18, v88
	v_add_f16_e32 v43, v89, v43
	v_mul_f16_e32 v89, 0x2fb7, v65
	v_fma_f16 v90, v63, s10, v89
	v_add_f16_e32 v43, v90, v43
	v_mul_f16_e32 v90, 0xbbc4, v68
	v_fma_f16 v91, v66, s24, v90
	v_add_f16_e32 v43, v91, v43
	v_mul_f16_e32 v91, 0x388b, v71
	v_fma_f16 v92, v69, s16, v91
	v_add_f16_e32 v43, v92, v43
	v_mul_f16_e32 v92, 0x394e, v73
	v_fma_f16 v93, v72, s19, v92
	v_add_f16_e32 v54, v93, v54
	v_mul_f16_e32 v93, 0x3770, v76
	v_fma_f16 v94, v75, s21, v93
	v_add_f16_e32 v54, v94, v54
	v_mul_f16_e32 v94, 0xbbf1, v79
	v_fma_f16 v95, v78, s23, v94
	v_add_f16_e32 v54, v95, v54
	v_mul_f16_e32 v95, 0x33a8, v82
	v_fma_f16 v96, v81, s2, v95
	v_add_f16_e32 v54, v96, v54
	v_mul_f16_e32 v96, 0x3a95, v85
	v_fma_f16 v97, v84, s20, v96
	v_add_f16_e32 v54, v97, v54
	v_mul_f16_e32 v97, 0xbbc4, v59
	v_fma_f16 v98, v13, s25, v97
	v_add_f16_e32 v44, v98, v44
	v_mul_f16_e32 v98, 0xb5ac, v62
	v_fma_f16 v99, v60, s6, v98
	v_add_f16_e32 v44, v99, v44
	v_mul_f16_e32 v99, 0x3b15, v65
	v_fma_f16 v100, v63, s18, v99
	v_add_f16_e32 v44, v100, v44
	v_mul_f16_e32 v100, 0x388b, v68
	v_fma_f16 v101, v66, s11, v100
	v_add_f16_e32 v44, v101, v44
	v_mul_f16_e32 v101, 0xb9fd, v71
	v_fma_f16 v102, v69, s15, v101
	v_add_f16_e32 v44, v102, v44
	v_mul_f16_e32 v102, 0xb3a8, v73
	v_fma_f16 v103, v72, s2, v102
	v_add_f16_e32 v55, v103, v55
	v_mul_f16_e32 v103, 0x3b7b, v76
	v_fma_f16 v104, v75, s22, v103
	v_add_f16_e32 v55, v104, v55
	v_mul_f16_e32 v104, 0x3770, v79
	v_fma_f16 v105, v78, s21, v104
	v_fma_f16 v58, v13, s10, v58
	v_add_f16_e32 v55, v105, v55
	v_mul_f16_e32 v105, 0xba95, v82
	v_add_f16_e32 v37, v58, v37
	v_fma_f16 v58, v60, s16, v61
	v_fma_f16 v106, v81, s20, v105
	v_add_f16_e32 v37, v58, v37
	v_fma_f16 v58, v63, s25, v64
	v_add_f16_e32 v55, v106, v55
	v_mul_f16_e32 v106, 0xb94e, v85
	v_add_f16_e32 v37, v58, v37
	v_fma_f16 v58, v66, s7, v67
	v_fma_f16 v107, v84, s19, v106
	v_add_f16_e32 v37, v58, v37
	v_fma_f16 v58, v69, s6, v70
	v_add_f16_e32 v55, v107, v55
	v_mul_f16_e32 v107, 0xb5ac, v59
	v_add_f16_e32 v37, v58, v37
	v_fma_f16 v58, v72, s23, -v74
	v_fma_f16 v108, v13, s17, v107
	v_add_f16_e32 v50, v58, v50
	v_fma_f16 v58, v75, s20, -v77
	v_add_f16_e32 v45, v108, v45
	v_mul_f16_e32 v108, 0xbbc4, v62
	v_add_f16_e32 v50, v58, v50
	v_fma_f16 v58, v78, s2, -v80
	v_fma_f16 v109, v60, s25, v108
	v_add_f16_e32 v50, v58, v50
	v_fma_f16 v58, v81, s21, -v83
	v_add_f16_e32 v45, v109, v45
	v_mul_f16_e32 v109, 0xb9fd, v65
	v_add_f16_e32 v50, v58, v50
	v_fma_f16 v58, v84, s22, -v86
	v_fma_f16 v110, v63, s3, v109
	v_add_f16_e32 v50, v58, v50
	v_fma_f16 v58, v13, s15, v87
	v_add_f16_e32 v45, v110, v45
	v_mul_f16_e32 v110, 0x2fb7, v68
	v_add_f16_e32 v38, v58, v38
	v_fma_f16 v58, v60, s7, v88
	v_fma_f16 v111, v66, s14, v110
	v_add_f16_e32 v38, v58, v38
	v_fma_f16 v58, v63, s14, v89
	v_add_f16_e32 v45, v111, v45
	v_mul_f16_e32 v111, 0x3b15, v71
	v_add_f16_e32 v38, v58, v38
	v_fma_f16 v58, v66, s25, v90
	v_add_f16_e32 v25, v25, v27
	v_fma_f16 v112, v69, s18, v111
	;; [unrolled: 2-line block ×3, first 2 shown]
	v_add_f16_e32 v25, v25, v28
	v_add_f16_e32 v45, v112, v45
	v_mul_f16_e32 v112, 0xbb7b, v73
	v_add_f16_e32 v38, v58, v38
	v_fma_f16 v58, v72, s19, -v92
	v_add_f16_e32 v25, v25, v26
	v_fma_f16 v113, v72, s22, v112
	v_add_f16_e32 v51, v58, v51
	v_fma_f16 v58, v75, s21, -v93
	v_add_f16_e32 v25, v25, v33
	v_add_f16_e32 v56, v113, v56
	v_mul_f16_e32 v113, 0xb3a8, v76
	v_add_f16_e32 v51, v58, v51
	v_fma_f16 v58, v78, s23, -v94
	v_add_f16_e32 v25, v25, v31
	v_fma_f16 v114, v75, s2, v113
	v_add_f16_e32 v51, v58, v51
	v_fma_f16 v58, v81, s2, -v95
	v_add_f16_e32 v25, v25, v29
	v_add_f16_e32 v56, v114, v56
	v_mul_f16_e32 v114, 0x394e, v79
	v_add_f16_e32 v51, v58, v51
	v_fma_f16 v58, v84, s20, -v96
	v_add_f16_e32 v21, v25, v21
	v_fma_f16 v115, v78, s19, v114
	v_add_f16_e32 v51, v58, v51
	v_fma_f16 v58, v13, s24, v97
	v_add_f16_e32 v21, v21, v32
	v_add_f16_e32 v56, v115, v56
	v_mul_f16_e32 v115, 0x3bf1, v82
	v_add_f16_e32 v39, v58, v39
	v_fma_f16 v58, v60, s17, v98
	v_add_f16_e32 v1, v21, v1
	v_fma_f16 v116, v81, s23, v115
	v_add_f16_e32 v39, v58, v39
	v_fma_f16 v58, v63, s7, v99
	v_add_f16_e32 v1, v1, v2
	v_add_f16_e32 v2, v12, v16
	;; [unrolled: 1-line block ×3, first 2 shown]
	v_mul_f16_e32 v116, 0x3770, v85
	v_add_f16_e32 v39, v58, v39
	v_fma_f16 v58, v66, s16, v100
	v_add_f16_e32 v2, v2, v17
	v_fma_f16 v117, v84, s21, v116
	v_mul_f16_e32 v59, 0x388b, v59
	v_add_f16_e32 v39, v58, v39
	v_fma_f16 v58, v69, s3, v101
	v_add_f16_e32 v2, v2, v14
	v_add_f16_e32 v56, v117, v56
	v_fma_f16 v117, v13, s11, v59
	v_mul_f16_e32 v62, 0x2fb7, v62
	v_add_f16_e32 v39, v58, v39
	v_fma_f16 v58, v72, s2, -v102
	v_add_f16_e32 v2, v2, v15
	v_add_f16_e32 v46, v117, v46
	v_fma_f16 v117, v60, s10, v62
	v_mul_f16_e32 v65, 0xb5ac, v65
	v_add_f16_e32 v52, v58, v52
	v_fma_f16 v58, v75, s22, -v103
	;; [unrolled: 6-line block ×5, first 2 shown]
	v_add_f16_e32 v0, v2, v0
	v_add_f16_e32 v46, v117, v46
	v_fma_f16 v117, v72, s20, v73
	v_mul_f16_e32 v76, 0xbbf1, v76
	v_add_f16_e32 v52, v58, v52
	v_fma_f16 v58, v13, s6, v107
	v_add_f16_e32 v0, v0, v22
	v_add_f16_e32 v57, v117, v57
	v_fma_f16 v117, v75, s23, v76
	v_mul_f16_e32 v79, 0xbb7b, v79
	v_add_f16_e32 v40, v58, v40
	v_fma_f16 v58, v60, s24, v108
	v_fma_f16 v13, v13, s16, v59
	v_add_f16_e32 v0, v0, v23
	v_add_f16_e32 v57, v117, v57
	v_fma_f16 v117, v78, s22, v79
	v_mul_f16_e32 v82, 0xb94e, v82
	v_add_f16_e32 v40, v58, v40
	v_fma_f16 v58, v63, s15, v109
	v_add_f16_e32 v13, v13, v34
	v_fma_f16 v34, v60, s14, v62
	v_add_f16_sdwa v1, v1, v3 dst_sel:WORD_1 dst_unused:UNUSED_PAD src0_sel:DWORD src1_sel:DWORD
	v_add_f16_e32 v0, v0, v30
	v_add_f16_e32 v57, v117, v57
	v_fma_f16 v117, v81, s19, v82
	v_mul_f16_e32 v85, 0xb3a8, v85
	v_add_f16_e32 v40, v58, v40
	v_fma_f16 v58, v66, s10, v110
	v_add_f16_e32 v13, v34, v13
	v_fma_f16 v34, v63, s6, v65
	v_or_b32_e32 v0, v1, v0
	v_lshrrev_b32_e32 v1, 1, v4
	v_add_f16_e32 v57, v117, v57
	v_fma_f16 v117, v84, s2, v85
	v_add_f16_e32 v40, v58, v40
	v_fma_f16 v58, v69, s7, v111
	;; [unrolled: 2-line block ×3, first 2 shown]
	v_mul_u32_u24_e32 v1, 26, v1
	v_add_f16_e32 v57, v117, v57
	v_add_f16_e32 v40, v58, v40
	v_fma_f16 v58, v72, s22, -v112
	v_add_f16_e32 v13, v34, v13
	v_fma_f16 v34, v69, s24, v71
	v_or_b32_e32 v1, v1, v9
	v_add_f16_e32 v53, v58, v53
	v_fma_f16 v58, v75, s2, -v113
	v_add_f16_e32 v13, v34, v13
	v_fma_f16 v34, v72, s20, -v73
	v_lshl_add_u32 v1, v1, 2, 0
	v_pack_b32_f16 v2, v57, v46
	v_add_f16_e32 v53, v58, v53
	v_fma_f16 v58, v78, s19, -v114
	v_add_f16_e32 v34, v34, v41
	v_fma_f16 v41, v75, s23, -v76
	ds_write2_b32 v1, v0, v2 offset1:2
	v_pack_b32_f16 v0, v56, v45
	v_pack_b32_f16 v2, v55, v44
	v_add_f16_e32 v53, v58, v53
	v_fma_f16 v58, v81, s23, -v115
	v_add_f16_e32 v34, v41, v34
	v_fma_f16 v41, v78, s22, -v79
	ds_write2_b32 v1, v0, v2 offset0:4 offset1:6
	v_pack_b32_f16 v0, v54, v43
	v_pack_b32_f16 v2, v49, v36
	v_add_f16_e32 v53, v58, v53
	v_fma_f16 v58, v84, s21, -v116
	v_add_f16_e32 v34, v41, v34
	v_fma_f16 v41, v81, s19, -v82
	ds_write2_b32 v1, v0, v2 offset0:8 offset1:10
	v_pack_b32_f16 v0, v48, v35
	v_pack_b32_f16 v2, v47, v42
	v_add_f16_e32 v53, v58, v53
	v_add_f16_e32 v34, v41, v34
	v_fma_f16 v41, v84, s2, -v85
	ds_write2_b32 v1, v0, v2 offset0:12 offset1:14
	v_pack_b32_f16 v0, v50, v37
	v_pack_b32_f16 v2, v51, v38
	v_add_f16_e32 v34, v41, v34
	ds_write2_b32 v1, v0, v2 offset0:16 offset1:18
	v_pack_b32_f16 v0, v52, v39
	v_pack_b32_f16 v2, v53, v40
	ds_write2_b32 v1, v0, v2 offset0:20 offset1:22
	v_pack_b32_f16 v0, v34, v13
	ds_write_b32 v1, v0 offset:96
.LBB0_19:
	s_or_b64 exec, exec, s[4:5]
	s_movk_i32 s2, 0x4f
	v_mul_lo_u16_sdwa v0, v4, s2 dst_sel:DWORD dst_unused:UNUSED_PAD src0_sel:BYTE_0 src1_sel:DWORD
	v_lshrrev_b16_e32 v3, 11, v0
	v_mul_lo_u16_e32 v0, 26, v3
	v_sub_u16_e32 v9, v4, v0
	v_mov_b32_e32 v0, 6
	v_mul_u32_u24_sdwa v0, v9, v0 dst_sel:DWORD dst_unused:UNUSED_PAD src0_sel:BYTE_0 src1_sel:DWORD
	v_lshlrev_b32_e32 v0, 2, v0
	s_waitcnt lgkmcnt(0)
	s_barrier
	global_load_dwordx4 v[12:15], v0, s[8:9] offset:96
	global_load_dwordx2 v[16:17], v0, s[8:9] offset:112
	v_lshl_add_u32 v2, v8, 2, 0
	ds_read_b32 v20, v24
	v_lshl_add_u32 v1, v11, 2, 0
	v_lshl_add_u32 v0, v10, 2, 0
	v_add_u32_e32 v21, 0xb00, v24
	ds_read_b32 v22, v2
	ds_read_b32 v23, v1
	ds_read_b32 v25, v0
	ds_read2_b32 v[18:19], v21 offset0:24 offset1:206
	ds_read_b32 v26, v24 offset:4368
	s_waitcnt lgkmcnt(4)
	v_lshrrev_b32_e32 v27, 16, v22
	s_waitcnt lgkmcnt(3)
	v_lshrrev_b32_e32 v28, 16, v23
	;; [unrolled: 2-line block ×5, first 2 shown]
	v_lshrrev_b32_e32 v30, 16, v18
	s_movk_i32 s2, 0x2b26
	s_mov_b32 s3, 0xbb00
	s_mov_b32 s4, 0xbcab
	s_movk_i32 s5, 0x39e0
	s_mov_b32 s6, 0xb9e0
	s_mov_b32 s7, 0xb574
	s_movk_i32 s10, 0x3574
	s_mov_b32 s11, 0xb70e
	v_mul_u32_u24_e32 v3, 0x2d8, v3
	s_waitcnt vmcnt(0)
	s_barrier
	v_mul_f16_sdwa v33, v12, v27 dst_sel:DWORD dst_unused:UNUSED_PAD src0_sel:WORD_1 src1_sel:DWORD
	v_mul_f16_sdwa v34, v12, v22 dst_sel:DWORD dst_unused:UNUSED_PAD src0_sel:WORD_1 src1_sel:DWORD
	;; [unrolled: 1-line block ×12, first 2 shown]
	v_fma_f16 v22, v12, v22, v33
	v_fma_f16 v12, v12, v27, -v34
	v_fma_f16 v23, v13, v23, v35
	v_fma_f16 v13, v13, v28, -v36
	;; [unrolled: 2-line block ×6, first 2 shown]
	v_add_f16_e32 v27, v22, v26
	v_add_f16_e32 v28, v12, v17
	v_sub_f16_e32 v22, v22, v26
	v_sub_f16_e32 v12, v12, v17
	v_add_f16_e32 v17, v23, v19
	v_add_f16_e32 v26, v13, v16
	v_sub_f16_e32 v19, v23, v19
	v_sub_f16_e32 v13, v13, v16
	;; [unrolled: 4-line block ×4, first 2 shown]
	v_sub_f16_e32 v27, v27, v16
	v_sub_f16_e32 v28, v28, v23
	;; [unrolled: 1-line block ×4, first 2 shown]
	v_add_f16_e32 v31, v18, v19
	v_add_f16_e32 v32, v14, v13
	v_sub_f16_e32 v33, v18, v19
	v_sub_f16_e32 v34, v14, v13
	;; [unrolled: 1-line block ×4, first 2 shown]
	v_add_f16_e32 v15, v16, v15
	v_add_f16_e32 v16, v23, v25
	v_sub_f16_e32 v18, v22, v18
	v_sub_f16_e32 v14, v12, v14
	v_add_f16_e32 v22, v31, v22
	v_add_f16_e32 v12, v32, v12
	v_mul_f16_e32 v23, 0x3a52, v27
	v_mul_f16_e32 v25, 0x3a52, v28
	;; [unrolled: 1-line block ×5, first 2 shown]
	v_add_f16_e32 v32, v15, v20
	v_add_f16_sdwa v20, v16, v20 dst_sel:DWORD dst_unused:UNUSED_PAD src0_sel:DWORD src1_sel:WORD_1
	v_mul_f16_e32 v34, 0x3846, v34
	v_mul_f16_e32 v35, 0xbb00, v19
	;; [unrolled: 1-line block ×3, first 2 shown]
	v_lshlrev_b32_e32 v33, 16, v20
	v_fma_f16 v15, v15, s4, v32
	v_fma_f16 v16, v16, s4, v20
	;; [unrolled: 1-line block ×4, first 2 shown]
	v_fma_f16 v26, v29, s5, -v27
	v_fma_f16 v27, v30, s5, -v28
	;; [unrolled: 1-line block ×4, first 2 shown]
	v_fma_f16 v28, v18, s7, v31
	v_fma_f16 v29, v14, s7, v34
	v_fma_f16 v13, v13, s3, -v34
	v_fma_f16 v18, v18, s10, -v35
	v_fma_f16 v14, v14, s10, -v36
	v_add_f16_e32 v17, v17, v15
	v_add_f16_e32 v20, v20, v16
	;; [unrolled: 1-line block ×6, first 2 shown]
	v_fma_f16 v25, v12, s11, v29
	v_fma_f16 v13, v12, s11, v13
	;; [unrolled: 1-line block ×4, first 2 shown]
	v_fma_f16 v19, v19, s3, -v31
	v_fma_f16 v23, v22, s11, v28
	v_add_f16_e32 v28, v12, v15
	v_sub_f16_e32 v29, v16, v18
	v_sub_f16_e32 v12, v15, v12
	v_add_f16_e32 v15, v18, v16
	v_mov_b32_e32 v18, 2
	v_fma_f16 v19, v22, s11, v19
	v_add_f16_e32 v14, v25, v17
	v_sub_f16_e32 v22, v20, v23
	v_lshlrev_b32_sdwa v9, v18, v9 dst_sel:DWORD dst_unused:UNUSED_PAD src0_sel:DWORD src1_sel:BYTE_0
	v_or_b32_e32 v33, v33, v32
	v_sub_f16_e32 v30, v26, v13
	v_add_f16_e32 v31, v19, v27
	v_add3_u32 v3, 0, v3, v9
	v_pack_b32_f16 v9, v14, v22
	v_add_f16_e32 v13, v13, v26
	v_sub_f16_e32 v19, v27, v19
	ds_write2_b32 v3, v33, v9 offset1:26
	v_pack_b32_f16 v9, v28, v29
	v_pack_b32_f16 v14, v30, v31
	v_sub_f16_e32 v16, v17, v25
	v_add_f16_e32 v17, v23, v20
	ds_write2_b32 v3, v9, v14 offset0:52 offset1:78
	v_pack_b32_f16 v9, v13, v19
	v_pack_b32_f16 v12, v12, v15
	ds_write2_b32 v3, v9, v12 offset0:104 offset1:130
	v_pack_b32_f16 v9, v16, v17
	ds_write_b32 v3, v9 offset:624
	v_mul_u32_u24_e32 v3, 6, v4
	v_lshlrev_b32_e32 v3, 2, v3
	s_waitcnt lgkmcnt(0)
	s_barrier
	global_load_dwordx4 v[12:15], v3, s[8:9] offset:720
	global_load_dwordx2 v[16:17], v3, s[8:9] offset:736
	ds_read_b32 v3, v24
	ds_read_b32 v9, v2
	;; [unrolled: 1-line block ×4, first 2 shown]
	ds_read2_b32 v[18:19], v21 offset0:24 offset1:206
	ds_read_b32 v23, v24 offset:4368
	s_waitcnt lgkmcnt(4)
	v_lshrrev_b32_e32 v25, 16, v9
	s_waitcnt lgkmcnt(3)
	v_lshrrev_b32_e32 v26, 16, v20
	s_waitcnt vmcnt(0) lgkmcnt(0)
	s_barrier
	v_mul_f16_sdwa v27, v12, v25 dst_sel:DWORD dst_unused:UNUSED_PAD src0_sel:WORD_1 src1_sel:DWORD
	v_mul_f16_sdwa v28, v12, v9 dst_sel:DWORD dst_unused:UNUSED_PAD src0_sel:WORD_1 src1_sel:DWORD
	v_fma_f16 v9, v12, v9, v27
	v_fma_f16 v12, v12, v25, -v28
	v_mul_f16_sdwa v25, v13, v26 dst_sel:DWORD dst_unused:UNUSED_PAD src0_sel:WORD_1 src1_sel:DWORD
	v_fma_f16 v25, v13, v20, v25
	v_mul_f16_sdwa v20, v13, v20 dst_sel:DWORD dst_unused:UNUSED_PAD src0_sel:WORD_1 src1_sel:DWORD
	v_fma_f16 v13, v13, v26, -v20
	v_lshrrev_b32_e32 v20, 16, v22
	v_mul_f16_sdwa v26, v14, v20 dst_sel:DWORD dst_unused:UNUSED_PAD src0_sel:WORD_1 src1_sel:DWORD
	v_fma_f16 v26, v14, v22, v26
	v_mul_f16_sdwa v22, v14, v22 dst_sel:DWORD dst_unused:UNUSED_PAD src0_sel:WORD_1 src1_sel:DWORD
	v_fma_f16 v14, v14, v20, -v22
	v_lshrrev_b32_e32 v20, 16, v18
	;; [unrolled: 5-line block ×4, first 2 shown]
	v_mul_f16_sdwa v19, v17, v18 dst_sel:DWORD dst_unused:UNUSED_PAD src0_sel:WORD_1 src1_sel:DWORD
	v_fma_f16 v19, v17, v23, v19
	v_mul_f16_sdwa v23, v17, v23 dst_sel:DWORD dst_unused:UNUSED_PAD src0_sel:WORD_1 src1_sel:DWORD
	v_fma_f16 v17, v17, v18, -v23
	v_add_f16_e32 v18, v9, v19
	v_add_f16_e32 v23, v12, v17
	v_sub_f16_e32 v9, v9, v19
	v_sub_f16_e32 v12, v12, v17
	v_add_f16_e32 v17, v25, v20
	v_add_f16_e32 v19, v13, v16
	v_sub_f16_e32 v20, v25, v20
	v_sub_f16_e32 v13, v13, v16
	;; [unrolled: 4-line block ×4, first 2 shown]
	v_sub_f16_e32 v17, v16, v17
	v_add_f16_e32 v15, v16, v15
	v_add_f16_e32 v16, v25, v26
	v_sub_f16_e32 v28, v19, v23
	v_sub_f16_e32 v23, v23, v25
	;; [unrolled: 1-line block ×3, first 2 shown]
	v_add_f16_e32 v29, v22, v20
	v_add_f16_e32 v30, v14, v13
	v_sub_f16_e32 v31, v22, v20
	v_sub_f16_e32 v32, v14, v13
	;; [unrolled: 1-line block ×4, first 2 shown]
	v_add_f16_e32 v25, v15, v3
	v_add_f16_sdwa v3, v16, v3 dst_sel:DWORD dst_unused:UNUSED_PAD src0_sel:DWORD src1_sel:WORD_1
	v_sub_f16_e32 v22, v9, v22
	v_sub_f16_e32 v14, v12, v14
	v_add_f16_e32 v9, v29, v9
	v_add_f16_e32 v12, v30, v12
	v_lshlrev_b32_e32 v26, 16, v3
	v_mul_f16_e32 v18, 0x3a52, v18
	v_mul_f16_e32 v23, 0x3a52, v23
	;; [unrolled: 1-line block ×8, first 2 shown]
	v_or_b32_e32 v26, v26, v25
	v_fma_f16 v15, v15, s4, v25
	v_fma_f16 v3, v16, s4, v3
	;; [unrolled: 1-line block ×4, first 2 shown]
	v_fma_f16 v19, v27, s5, -v29
	v_fma_f16 v25, v28, s5, -v30
	;; [unrolled: 1-line block ×4, first 2 shown]
	v_fma_f16 v27, v22, s7, v31
	v_fma_f16 v28, v14, s7, v32
	v_fma_f16 v20, v20, s3, -v31
	v_fma_f16 v13, v13, s3, -v32
	v_fma_f16 v22, v22, s10, -v33
	v_fma_f16 v14, v14, s10, -v34
	v_add_f16_e32 v16, v16, v15
	v_add_f16_e32 v17, v17, v3
	;; [unrolled: 1-line block ×6, first 2 shown]
	v_fma_f16 v18, v9, s11, v27
	v_fma_f16 v23, v12, s11, v28
	;; [unrolled: 1-line block ×6, first 2 shown]
	v_add_f16_e32 v14, v23, v16
	v_sub_f16_e32 v22, v17, v18
	v_add_f16_e32 v27, v12, v15
	v_sub_f16_e32 v28, v3, v9
	v_sub_f16_e32 v29, v19, v13
	v_add_f16_e32 v13, v13, v19
	v_sub_f16_e32 v19, v25, v20
	v_sub_f16_e32 v12, v15, v12
	v_add_f16_e32 v3, v9, v3
	v_add_f16_e32 v30, v20, v25
	v_sub_f16_e32 v9, v16, v23
	v_add_f16_e32 v15, v18, v17
	v_pack_b32_f16 v14, v14, v22
	v_pack_b32_f16 v13, v13, v19
	;; [unrolled: 1-line block ×3, first 2 shown]
	ds_write2_b32 v24, v26, v14 offset1:182
	v_pack_b32_f16 v14, v27, v28
	v_pack_b32_f16 v16, v29, v30
	v_add_u32_e32 v17, 0x500, v24
	ds_write2_b32 v21, v13, v3 offset0:24 offset1:206
	v_pack_b32_f16 v3, v9, v15
	ds_write2_b32 v17, v14, v16 offset0:44 offset1:226
	ds_write_b32 v24, v3 offset:4368
	s_waitcnt lgkmcnt(0)
	s_barrier
	ds_read_b32 v9, v24
	s_add_u32 s6, s8, 0x13e0
	s_addc_u32 s7, s9, 0
	v_sub_u32_e32 v3, 0, v5
	v_cmp_ne_u32_e64 s[2:3], 0, v4
                                        ; implicit-def: $vgpr13
                                        ; implicit-def: $vgpr5
	s_and_saveexec_b64 s[4:5], s[2:3]
	s_xor_b64 s[4:5], exec, s[4:5]
	s_cbranch_execz .LBB0_21
; %bb.20:
	v_mov_b32_e32 v5, 0
	v_lshlrev_b64 v[12:13], 2, v[4:5]
	v_mov_b32_e32 v5, s7
	v_add_co_u32_e64 v12, s[2:3], s6, v12
	v_addc_co_u32_e64 v13, s[2:3], v5, v13, s[2:3]
	global_load_dword v12, v[12:13], off
	ds_read_b32 v5, v3 offset:5096
	s_waitcnt lgkmcnt(0)
	v_add_f16_e32 v13, v5, v9
	v_add_f16_sdwa v14, v5, v9 dst_sel:DWORD dst_unused:UNUSED_PAD src0_sel:WORD_1 src1_sel:WORD_1
	v_sub_f16_e32 v15, v9, v5
	v_sub_f16_sdwa v5, v9, v5 dst_sel:DWORD dst_unused:UNUSED_PAD src0_sel:WORD_1 src1_sel:WORD_1
	v_mul_f16_e32 v9, 0.5, v14
	v_mul_f16_e32 v14, 0.5, v15
	;; [unrolled: 1-line block ×3, first 2 shown]
	s_waitcnt vmcnt(0)
	v_lshrrev_b32_e32 v15, 16, v12
	v_mul_f16_e32 v16, v15, v14
	v_fma_f16 v17, v9, v15, v5
	v_fma_f16 v5, v9, v15, -v5
	v_fma_f16 v15, v13, 0.5, v16
	v_fma_f16 v17, -v12, v14, v17
	v_fma_f16 v13, v13, 0.5, -v16
	v_fma_f16 v14, -v12, v14, v5
	v_fma_f16 v5, v12, v9, v15
	ds_write_b16 v24, v17 offset:2
	v_fma_f16 v13, -v12, v9, v13
	ds_write_b16 v3, v14 offset:5098
                                        ; implicit-def: $vgpr9
.LBB0_21:
	s_andn2_saveexec_b64 s[2:3], s[4:5]
	s_cbranch_execz .LBB0_23
; %bb.22:
	v_mov_b32_e32 v12, 0
	ds_write_b16 v24, v12 offset:2
	ds_write_b16 v3, v12 offset:5098
	ds_read_u16 v14, v12 offset:2550
	s_waitcnt lgkmcnt(3)
	v_add_f16_sdwa v5, v9, v9 dst_sel:DWORD dst_unused:UNUSED_PAD src0_sel:WORD_1 src1_sel:DWORD
	v_sub_f16_sdwa v13, v9, v9 dst_sel:DWORD dst_unused:UNUSED_PAD src0_sel:DWORD src1_sel:WORD_1
	s_waitcnt lgkmcnt(0)
	v_xor_b32_e32 v9, 0x8000, v14
	ds_write_b16 v12, v9 offset:2550
.LBB0_23:
	s_or_b64 exec, exec, s[2:3]
	s_waitcnt lgkmcnt(0)
	v_mov_b32_e32 v9, 0
	v_lshlrev_b64 v[14:15], 2, v[8:9]
	v_mov_b32_e32 v8, s7
	v_add_co_u32_e64 v14, s[2:3], s6, v14
	v_addc_co_u32_e64 v15, s[2:3], v8, v15, s[2:3]
	global_load_dword v8, v[14:15], off
	v_mov_b32_e32 v12, v9
	v_lshlrev_b64 v[11:12], 2, v[11:12]
	v_mov_b32_e32 v14, s7
	v_add_co_u32_e64 v11, s[2:3], s6, v11
	v_addc_co_u32_e64 v12, s[2:3], v14, v12, s[2:3]
	global_load_dword v11, v[11:12], off
	ds_write_b16 v24, v5
	ds_write_b16 v3, v13 offset:5096
	ds_read_b32 v5, v2
	ds_read_b32 v12, v3 offset:4368
	s_mov_b32 s4, 0xffff
	s_waitcnt lgkmcnt(0)
	v_pk_add_f16 v13, v5, v12 neg_lo:[0,1] neg_hi:[0,1]
	v_pk_add_f16 v5, v5, v12
	v_bfi_b32 v12, s4, v13, v5
	v_bfi_b32 v5, s4, v5, v13
	v_pk_mul_f16 v12, v12, 0.5 op_sel_hi:[1,0]
	v_pk_mul_f16 v5, v5, 0.5 op_sel_hi:[1,0]
	s_waitcnt vmcnt(1)
	v_pk_fma_f16 v13, v8, v12, v5 op_sel:[1,0,0]
	v_pk_mul_f16 v14, v8, v12 op_sel_hi:[0,1]
	v_pk_fma_f16 v15, v8, v12, v5 op_sel:[1,0,0] neg_lo:[1,0,0] neg_hi:[1,0,0]
	v_pk_fma_f16 v5, v8, v12, v5 op_sel:[1,0,0] neg_lo:[0,0,1] neg_hi:[0,0,1]
	v_pk_add_f16 v8, v13, v14 op_sel:[0,1] op_sel_hi:[1,0]
	v_pk_add_f16 v12, v13, v14 op_sel:[0,1] op_sel_hi:[1,0] neg_lo:[0,1] neg_hi:[0,1]
	v_pk_add_f16 v13, v15, v14 op_sel:[0,1] op_sel_hi:[1,0] neg_lo:[0,1] neg_hi:[0,1]
	;; [unrolled: 1-line block ×3, first 2 shown]
	v_bfi_b32 v8, s4, v8, v12
	v_bfi_b32 v5, s4, v13, v5
	ds_write_b32 v2, v8
	ds_write_b32 v3, v5 offset:4368
	ds_read_b32 v2, v1
	ds_read_b32 v5, v3 offset:3640
	s_waitcnt lgkmcnt(0)
	v_pk_add_f16 v8, v2, v5 neg_lo:[0,1] neg_hi:[0,1]
	v_pk_add_f16 v2, v2, v5
	v_bfi_b32 v5, s4, v8, v2
	v_bfi_b32 v2, s4, v2, v8
	v_pk_mul_f16 v5, v5, 0.5 op_sel_hi:[1,0]
	v_pk_mul_f16 v2, v2, 0.5 op_sel_hi:[1,0]
	s_waitcnt vmcnt(0)
	v_pk_fma_f16 v8, v11, v5, v2 op_sel:[1,0,0]
	v_pk_mul_f16 v12, v11, v5 op_sel_hi:[0,1]
	v_pk_fma_f16 v13, v11, v5, v2 op_sel:[1,0,0] neg_lo:[1,0,0] neg_hi:[1,0,0]
	v_pk_fma_f16 v2, v11, v5, v2 op_sel:[1,0,0] neg_lo:[0,0,1] neg_hi:[0,0,1]
	v_pk_add_f16 v5, v8, v12 op_sel:[0,1] op_sel_hi:[1,0]
	v_pk_add_f16 v8, v8, v12 op_sel:[0,1] op_sel_hi:[1,0] neg_lo:[0,1] neg_hi:[0,1]
	v_pk_add_f16 v11, v13, v12 op_sel:[0,1] op_sel_hi:[1,0] neg_lo:[0,1] neg_hi:[0,1]
	;; [unrolled: 1-line block ×3, first 2 shown]
	v_bfi_b32 v5, s4, v5, v8
	v_bfi_b32 v2, s4, v11, v2
	ds_write_b32 v1, v5
	ds_write_b32 v3, v2 offset:3640
	s_and_saveexec_b64 s[2:3], vcc
	s_cbranch_execz .LBB0_25
; %bb.24:
	v_mov_b32_e32 v11, v9
	v_lshlrev_b64 v[1:2], 2, v[10:11]
	v_mov_b32_e32 v5, s7
	v_add_co_u32_e32 v1, vcc, s6, v1
	v_addc_co_u32_e32 v2, vcc, v5, v2, vcc
	global_load_dword v1, v[1:2], off
	ds_read_b32 v2, v0
	ds_read_b32 v5, v3 offset:2912
	s_waitcnt lgkmcnt(0)
	v_pk_add_f16 v8, v2, v5 neg_lo:[0,1] neg_hi:[0,1]
	v_pk_add_f16 v2, v2, v5
	v_bfi_b32 v5, s4, v8, v2
	v_bfi_b32 v2, s4, v2, v8
	v_pk_mul_f16 v5, v5, 0.5 op_sel_hi:[1,0]
	v_pk_mul_f16 v2, v2, 0.5 op_sel_hi:[1,0]
	s_waitcnt vmcnt(0)
	v_pk_fma_f16 v8, v1, v5, v2 op_sel:[1,0,0]
	v_pk_mul_f16 v9, v1, v5 op_sel_hi:[0,1]
	v_pk_fma_f16 v10, v1, v5, v2 op_sel:[1,0,0] neg_lo:[1,0,0] neg_hi:[1,0,0]
	v_pk_fma_f16 v1, v1, v5, v2 op_sel:[1,0,0] neg_lo:[0,0,1] neg_hi:[0,0,1]
	v_pk_add_f16 v2, v8, v9 op_sel:[0,1] op_sel_hi:[1,0]
	v_pk_add_f16 v5, v8, v9 op_sel:[0,1] op_sel_hi:[1,0] neg_lo:[0,1] neg_hi:[0,1]
	v_pk_add_f16 v8, v10, v9 op_sel:[0,1] op_sel_hi:[1,0] neg_lo:[0,1] neg_hi:[0,1]
	;; [unrolled: 1-line block ×3, first 2 shown]
	v_bfi_b32 v2, s4, v2, v5
	v_bfi_b32 v1, s4, v8, v1
	ds_write_b32 v0, v2
	ds_write_b32 v3, v1 offset:2912
.LBB0_25:
	s_or_b64 exec, exec, s[2:3]
	s_waitcnt lgkmcnt(0)
	s_barrier
	s_and_saveexec_b64 s[2:3], s[0:1]
	s_cbranch_execz .LBB0_28
; %bb.26:
	v_mov_b32_e32 v5, 0
	ds_read2_b32 v[2:3], v24 offset1:182
	v_mov_b32_e32 v0, s13
	v_add_co_u32_e32 v1, vcc, s12, v6
	v_addc_co_u32_e32 v0, vcc, v0, v7, vcc
	v_lshlrev_b64 v[6:7], 2, v[4:5]
	v_add_u32_e32 v8, 0x500, v24
	ds_read2_b32 v[8:9], v8 offset0:44 offset1:226
	v_add_co_u32_e32 v6, vcc, v1, v6
	v_add_u32_e32 v10, 0xb00, v24
	v_addc_co_u32_e32 v7, vcc, v0, v7, vcc
	ds_read2_b32 v[10:11], v10 offset0:24 offset1:206
	s_waitcnt lgkmcnt(2)
	global_store_dword v[6:7], v2, off
	global_store_dword v[6:7], v3, off offset:728
	s_waitcnt lgkmcnt(1)
	global_store_dword v[6:7], v8, off offset:1456
	global_store_dword v[6:7], v9, off offset:2184
	s_waitcnt lgkmcnt(0)
	global_store_dword v[6:7], v10, off offset:2912
	global_store_dword v[6:7], v11, off offset:3640
	ds_read_b32 v8, v24 offset:4368
	v_add_co_u32_e32 v2, vcc, 0x1000, v6
	v_addc_co_u32_e32 v3, vcc, 0, v7, vcc
	s_movk_i32 s0, 0xb5
	v_cmp_eq_u32_e32 vcc, s0, v4
	s_waitcnt lgkmcnt(0)
	global_store_dword v[2:3], v8, off offset:272
	s_and_b64 exec, exec, vcc
	s_cbranch_execz .LBB0_28
; %bb.27:
	ds_read_b32 v3, v5 offset:5096
	v_add_co_u32_e32 v1, vcc, 0x1000, v1
	v_addc_co_u32_e32 v2, vcc, 0, v0, vcc
	s_waitcnt lgkmcnt(0)
	global_store_dword v[1:2], v3, off offset:1000
.LBB0_28:
	s_endpgm
	.section	.rodata,"a",@progbits
	.p2align	6, 0x0
	.amdhsa_kernel fft_rtc_back_len1274_factors_2_13_7_7_wgs_182_tpt_182_halfLds_half_ip_CI_unitstride_sbrr_R2C_dirReg
		.amdhsa_group_segment_fixed_size 0
		.amdhsa_private_segment_fixed_size 0
		.amdhsa_kernarg_size 88
		.amdhsa_user_sgpr_count 6
		.amdhsa_user_sgpr_private_segment_buffer 1
		.amdhsa_user_sgpr_dispatch_ptr 0
		.amdhsa_user_sgpr_queue_ptr 0
		.amdhsa_user_sgpr_kernarg_segment_ptr 1
		.amdhsa_user_sgpr_dispatch_id 0
		.amdhsa_user_sgpr_flat_scratch_init 0
		.amdhsa_user_sgpr_private_segment_size 0
		.amdhsa_uses_dynamic_stack 0
		.amdhsa_system_sgpr_private_segment_wavefront_offset 0
		.amdhsa_system_sgpr_workgroup_id_x 1
		.amdhsa_system_sgpr_workgroup_id_y 0
		.amdhsa_system_sgpr_workgroup_id_z 0
		.amdhsa_system_sgpr_workgroup_info 0
		.amdhsa_system_vgpr_workitem_id 0
		.amdhsa_next_free_vgpr 118
		.amdhsa_next_free_sgpr 26
		.amdhsa_reserve_vcc 1
		.amdhsa_reserve_flat_scratch 0
		.amdhsa_float_round_mode_32 0
		.amdhsa_float_round_mode_16_64 0
		.amdhsa_float_denorm_mode_32 3
		.amdhsa_float_denorm_mode_16_64 3
		.amdhsa_dx10_clamp 1
		.amdhsa_ieee_mode 1
		.amdhsa_fp16_overflow 0
		.amdhsa_exception_fp_ieee_invalid_op 0
		.amdhsa_exception_fp_denorm_src 0
		.amdhsa_exception_fp_ieee_div_zero 0
		.amdhsa_exception_fp_ieee_overflow 0
		.amdhsa_exception_fp_ieee_underflow 0
		.amdhsa_exception_fp_ieee_inexact 0
		.amdhsa_exception_int_div_zero 0
	.end_amdhsa_kernel
	.text
.Lfunc_end0:
	.size	fft_rtc_back_len1274_factors_2_13_7_7_wgs_182_tpt_182_halfLds_half_ip_CI_unitstride_sbrr_R2C_dirReg, .Lfunc_end0-fft_rtc_back_len1274_factors_2_13_7_7_wgs_182_tpt_182_halfLds_half_ip_CI_unitstride_sbrr_R2C_dirReg
                                        ; -- End function
	.section	.AMDGPU.csdata,"",@progbits
; Kernel info:
; codeLenInByte = 8160
; NumSgprs: 30
; NumVgprs: 118
; ScratchSize: 0
; MemoryBound: 0
; FloatMode: 240
; IeeeMode: 1
; LDSByteSize: 0 bytes/workgroup (compile time only)
; SGPRBlocks: 3
; VGPRBlocks: 29
; NumSGPRsForWavesPerEU: 30
; NumVGPRsForWavesPerEU: 118
; Occupancy: 2
; WaveLimiterHint : 1
; COMPUTE_PGM_RSRC2:SCRATCH_EN: 0
; COMPUTE_PGM_RSRC2:USER_SGPR: 6
; COMPUTE_PGM_RSRC2:TRAP_HANDLER: 0
; COMPUTE_PGM_RSRC2:TGID_X_EN: 1
; COMPUTE_PGM_RSRC2:TGID_Y_EN: 0
; COMPUTE_PGM_RSRC2:TGID_Z_EN: 0
; COMPUTE_PGM_RSRC2:TIDIG_COMP_CNT: 0
	.type	__hip_cuid_fd9f81fce947c1c7,@object ; @__hip_cuid_fd9f81fce947c1c7
	.section	.bss,"aw",@nobits
	.globl	__hip_cuid_fd9f81fce947c1c7
__hip_cuid_fd9f81fce947c1c7:
	.byte	0                               ; 0x0
	.size	__hip_cuid_fd9f81fce947c1c7, 1

	.ident	"AMD clang version 19.0.0git (https://github.com/RadeonOpenCompute/llvm-project roc-6.4.0 25133 c7fe45cf4b819c5991fe208aaa96edf142730f1d)"
	.section	".note.GNU-stack","",@progbits
	.addrsig
	.addrsig_sym __hip_cuid_fd9f81fce947c1c7
	.amdgpu_metadata
---
amdhsa.kernels:
  - .args:
      - .actual_access:  read_only
        .address_space:  global
        .offset:         0
        .size:           8
        .value_kind:     global_buffer
      - .offset:         8
        .size:           8
        .value_kind:     by_value
      - .actual_access:  read_only
        .address_space:  global
        .offset:         16
        .size:           8
        .value_kind:     global_buffer
      - .actual_access:  read_only
        .address_space:  global
        .offset:         24
        .size:           8
        .value_kind:     global_buffer
      - .offset:         32
        .size:           8
        .value_kind:     by_value
      - .actual_access:  read_only
        .address_space:  global
        .offset:         40
        .size:           8
        .value_kind:     global_buffer
      - .actual_access:  read_only
        .address_space:  global
        .offset:         48
        .size:           8
        .value_kind:     global_buffer
      - .offset:         56
        .size:           4
        .value_kind:     by_value
      - .actual_access:  read_only
        .address_space:  global
        .offset:         64
        .size:           8
        .value_kind:     global_buffer
      - .actual_access:  read_only
        .address_space:  global
        .offset:         72
        .size:           8
        .value_kind:     global_buffer
      - .address_space:  global
        .offset:         80
        .size:           8
        .value_kind:     global_buffer
    .group_segment_fixed_size: 0
    .kernarg_segment_align: 8
    .kernarg_segment_size: 88
    .language:       OpenCL C
    .language_version:
      - 2
      - 0
    .max_flat_workgroup_size: 182
    .name:           fft_rtc_back_len1274_factors_2_13_7_7_wgs_182_tpt_182_halfLds_half_ip_CI_unitstride_sbrr_R2C_dirReg
    .private_segment_fixed_size: 0
    .sgpr_count:     30
    .sgpr_spill_count: 0
    .symbol:         fft_rtc_back_len1274_factors_2_13_7_7_wgs_182_tpt_182_halfLds_half_ip_CI_unitstride_sbrr_R2C_dirReg.kd
    .uniform_work_group_size: 1
    .uses_dynamic_stack: false
    .vgpr_count:     118
    .vgpr_spill_count: 0
    .wavefront_size: 64
amdhsa.target:   amdgcn-amd-amdhsa--gfx906
amdhsa.version:
  - 1
  - 2
...

	.end_amdgpu_metadata
